;; amdgpu-corpus repo=ROCm/rocFFT kind=compiled arch=gfx1201 opt=O3
	.text
	.amdgcn_target "amdgcn-amd-amdhsa--gfx1201"
	.amdhsa_code_object_version 6
	.protected	fft_rtc_back_len900_factors_10_10_3_3_wgs_180_tpt_90_halfLds_dp_ip_CI_unitstride_sbrr_R2C_dirReg ; -- Begin function fft_rtc_back_len900_factors_10_10_3_3_wgs_180_tpt_90_halfLds_dp_ip_CI_unitstride_sbrr_R2C_dirReg
	.globl	fft_rtc_back_len900_factors_10_10_3_3_wgs_180_tpt_90_halfLds_dp_ip_CI_unitstride_sbrr_R2C_dirReg
	.p2align	8
	.type	fft_rtc_back_len900_factors_10_10_3_3_wgs_180_tpt_90_halfLds_dp_ip_CI_unitstride_sbrr_R2C_dirReg,@function
fft_rtc_back_len900_factors_10_10_3_3_wgs_180_tpt_90_halfLds_dp_ip_CI_unitstride_sbrr_R2C_dirReg: ; @fft_rtc_back_len900_factors_10_10_3_3_wgs_180_tpt_90_halfLds_dp_ip_CI_unitstride_sbrr_R2C_dirReg
; %bb.0:
	s_clause 0x2
	s_load_b128 s[4:7], s[0:1], 0x0
	s_load_b64 s[8:9], s[0:1], 0x50
	s_load_b64 s[10:11], s[0:1], 0x18
	v_mul_u32_u24_e32 v1, 0x2d9, v0
	v_mov_b32_e32 v3, 0
	s_delay_alu instid0(VALU_DEP_2) | instskip(SKIP_2) | instid1(VALU_DEP_4)
	v_lshrrev_b32_e32 v9, 16, v1
	v_mov_b32_e32 v1, 0
	v_mov_b32_e32 v2, 0
	;; [unrolled: 1-line block ×3, first 2 shown]
	s_delay_alu instid0(VALU_DEP_4) | instskip(SKIP_2) | instid1(VALU_DEP_1)
	v_lshl_add_u32 v5, ttmp9, 1, v9
	s_wait_kmcnt 0x0
	v_cmp_lt_u64_e64 s2, s[6:7], 2
	s_and_b32 vcc_lo, exec_lo, s2
	s_cbranch_vccnz .LBB0_8
; %bb.1:
	s_load_b64 s[2:3], s[0:1], 0x10
	v_mov_b32_e32 v1, 0
	v_mov_b32_e32 v2, 0
	s_add_nc_u64 s[12:13], s[10:11], 8
	s_mov_b64 s[14:15], 1
	s_wait_kmcnt 0x0
	s_add_nc_u64 s[16:17], s[2:3], 8
	s_mov_b32 s3, 0
.LBB0_2:                                ; =>This Inner Loop Header: Depth=1
	s_load_b64 s[18:19], s[16:17], 0x0
                                        ; implicit-def: $vgpr7_vgpr8
	s_mov_b32 s2, exec_lo
	s_wait_kmcnt 0x0
	v_or_b32_e32 v4, s19, v6
	s_delay_alu instid0(VALU_DEP_1)
	v_cmpx_ne_u64_e32 0, v[3:4]
	s_wait_alu 0xfffe
	s_xor_b32 s20, exec_lo, s2
	s_cbranch_execz .LBB0_4
; %bb.3:                                ;   in Loop: Header=BB0_2 Depth=1
	s_cvt_f32_u32 s2, s18
	s_cvt_f32_u32 s21, s19
	s_sub_nc_u64 s[24:25], 0, s[18:19]
	s_wait_alu 0xfffe
	s_delay_alu instid0(SALU_CYCLE_1) | instskip(SKIP_1) | instid1(SALU_CYCLE_2)
	s_fmamk_f32 s2, s21, 0x4f800000, s2
	s_wait_alu 0xfffe
	v_s_rcp_f32 s2, s2
	s_delay_alu instid0(TRANS32_DEP_1) | instskip(SKIP_1) | instid1(SALU_CYCLE_2)
	s_mul_f32 s2, s2, 0x5f7ffffc
	s_wait_alu 0xfffe
	s_mul_f32 s21, s2, 0x2f800000
	s_wait_alu 0xfffe
	s_delay_alu instid0(SALU_CYCLE_2) | instskip(SKIP_1) | instid1(SALU_CYCLE_2)
	s_trunc_f32 s21, s21
	s_wait_alu 0xfffe
	s_fmamk_f32 s2, s21, 0xcf800000, s2
	s_cvt_u32_f32 s23, s21
	s_wait_alu 0xfffe
	s_delay_alu instid0(SALU_CYCLE_1) | instskip(SKIP_1) | instid1(SALU_CYCLE_2)
	s_cvt_u32_f32 s22, s2
	s_wait_alu 0xfffe
	s_mul_u64 s[26:27], s[24:25], s[22:23]
	s_wait_alu 0xfffe
	s_mul_hi_u32 s29, s22, s27
	s_mul_i32 s28, s22, s27
	s_mul_hi_u32 s2, s22, s26
	s_mul_i32 s30, s23, s26
	s_wait_alu 0xfffe
	s_add_nc_u64 s[28:29], s[2:3], s[28:29]
	s_mul_hi_u32 s21, s23, s26
	s_mul_hi_u32 s31, s23, s27
	s_add_co_u32 s2, s28, s30
	s_wait_alu 0xfffe
	s_add_co_ci_u32 s2, s29, s21
	s_mul_i32 s26, s23, s27
	s_add_co_ci_u32 s27, s31, 0
	s_wait_alu 0xfffe
	s_add_nc_u64 s[26:27], s[2:3], s[26:27]
	s_wait_alu 0xfffe
	v_add_co_u32 v4, s2, s22, s26
	s_delay_alu instid0(VALU_DEP_1) | instskip(SKIP_1) | instid1(VALU_DEP_1)
	s_cmp_lg_u32 s2, 0
	s_add_co_ci_u32 s23, s23, s27
	v_readfirstlane_b32 s22, v4
	s_wait_alu 0xfffe
	s_delay_alu instid0(VALU_DEP_1)
	s_mul_u64 s[24:25], s[24:25], s[22:23]
	s_wait_alu 0xfffe
	s_mul_hi_u32 s27, s22, s25
	s_mul_i32 s26, s22, s25
	s_mul_hi_u32 s2, s22, s24
	s_mul_i32 s28, s23, s24
	s_wait_alu 0xfffe
	s_add_nc_u64 s[26:27], s[2:3], s[26:27]
	s_mul_hi_u32 s21, s23, s24
	s_mul_hi_u32 s22, s23, s25
	s_wait_alu 0xfffe
	s_add_co_u32 s2, s26, s28
	s_add_co_ci_u32 s2, s27, s21
	s_mul_i32 s24, s23, s25
	s_add_co_ci_u32 s25, s22, 0
	s_wait_alu 0xfffe
	s_add_nc_u64 s[24:25], s[2:3], s[24:25]
	s_wait_alu 0xfffe
	v_add_co_u32 v4, s2, v4, s24
	s_delay_alu instid0(VALU_DEP_1) | instskip(SKIP_1) | instid1(VALU_DEP_1)
	s_cmp_lg_u32 s2, 0
	s_add_co_ci_u32 s2, s23, s25
	v_mul_hi_u32 v14, v5, v4
	s_wait_alu 0xfffe
	v_mad_co_u64_u32 v[7:8], null, v5, s2, 0
	v_mad_co_u64_u32 v[10:11], null, v6, v4, 0
	;; [unrolled: 1-line block ×3, first 2 shown]
	s_delay_alu instid0(VALU_DEP_3) | instskip(SKIP_1) | instid1(VALU_DEP_4)
	v_add_co_u32 v4, vcc_lo, v14, v7
	s_wait_alu 0xfffd
	v_add_co_ci_u32_e32 v7, vcc_lo, 0, v8, vcc_lo
	s_delay_alu instid0(VALU_DEP_2) | instskip(SKIP_1) | instid1(VALU_DEP_2)
	v_add_co_u32 v4, vcc_lo, v4, v10
	s_wait_alu 0xfffd
	v_add_co_ci_u32_e32 v4, vcc_lo, v7, v11, vcc_lo
	s_wait_alu 0xfffd
	v_add_co_ci_u32_e32 v7, vcc_lo, 0, v13, vcc_lo
	s_delay_alu instid0(VALU_DEP_2) | instskip(SKIP_1) | instid1(VALU_DEP_2)
	v_add_co_u32 v4, vcc_lo, v4, v12
	s_wait_alu 0xfffd
	v_add_co_ci_u32_e32 v10, vcc_lo, 0, v7, vcc_lo
	s_delay_alu instid0(VALU_DEP_2) | instskip(SKIP_1) | instid1(VALU_DEP_3)
	v_mul_lo_u32 v11, s19, v4
	v_mad_co_u64_u32 v[7:8], null, s18, v4, 0
	v_mul_lo_u32 v12, s18, v10
	s_delay_alu instid0(VALU_DEP_2) | instskip(NEXT) | instid1(VALU_DEP_2)
	v_sub_co_u32 v7, vcc_lo, v5, v7
	v_add3_u32 v8, v8, v12, v11
	s_delay_alu instid0(VALU_DEP_1) | instskip(SKIP_1) | instid1(VALU_DEP_1)
	v_sub_nc_u32_e32 v11, v6, v8
	s_wait_alu 0xfffd
	v_subrev_co_ci_u32_e64 v11, s2, s19, v11, vcc_lo
	v_add_co_u32 v12, s2, v4, 2
	s_wait_alu 0xf1ff
	v_add_co_ci_u32_e64 v13, s2, 0, v10, s2
	v_sub_co_u32 v14, s2, v7, s18
	v_sub_co_ci_u32_e32 v8, vcc_lo, v6, v8, vcc_lo
	s_wait_alu 0xf1ff
	v_subrev_co_ci_u32_e64 v11, s2, 0, v11, s2
	s_delay_alu instid0(VALU_DEP_3) | instskip(NEXT) | instid1(VALU_DEP_3)
	v_cmp_le_u32_e32 vcc_lo, s18, v14
	v_cmp_eq_u32_e64 s2, s19, v8
	s_wait_alu 0xfffd
	v_cndmask_b32_e64 v14, 0, -1, vcc_lo
	v_cmp_le_u32_e32 vcc_lo, s19, v11
	s_wait_alu 0xfffd
	v_cndmask_b32_e64 v15, 0, -1, vcc_lo
	v_cmp_le_u32_e32 vcc_lo, s18, v7
	;; [unrolled: 3-line block ×3, first 2 shown]
	s_wait_alu 0xfffd
	v_cndmask_b32_e64 v16, 0, -1, vcc_lo
	v_cmp_eq_u32_e32 vcc_lo, s19, v11
	s_wait_alu 0xf1ff
	s_delay_alu instid0(VALU_DEP_2)
	v_cndmask_b32_e64 v7, v16, v7, s2
	s_wait_alu 0xfffd
	v_cndmask_b32_e32 v11, v15, v14, vcc_lo
	v_add_co_u32 v14, vcc_lo, v4, 1
	s_wait_alu 0xfffd
	v_add_co_ci_u32_e32 v15, vcc_lo, 0, v10, vcc_lo
	s_delay_alu instid0(VALU_DEP_3) | instskip(SKIP_1) | instid1(VALU_DEP_2)
	v_cmp_ne_u32_e32 vcc_lo, 0, v11
	s_wait_alu 0xfffd
	v_dual_cndmask_b32 v8, v15, v13 :: v_dual_cndmask_b32 v11, v14, v12
	v_cmp_ne_u32_e32 vcc_lo, 0, v7
	s_wait_alu 0xfffd
	s_delay_alu instid0(VALU_DEP_2)
	v_dual_cndmask_b32 v8, v10, v8 :: v_dual_cndmask_b32 v7, v4, v11
.LBB0_4:                                ;   in Loop: Header=BB0_2 Depth=1
	s_wait_alu 0xfffe
	s_and_not1_saveexec_b32 s2, s20
	s_cbranch_execz .LBB0_6
; %bb.5:                                ;   in Loop: Header=BB0_2 Depth=1
	v_cvt_f32_u32_e32 v4, s18
	s_sub_co_i32 s20, 0, s18
	s_delay_alu instid0(VALU_DEP_1) | instskip(NEXT) | instid1(TRANS32_DEP_1)
	v_rcp_iflag_f32_e32 v4, v4
	v_mul_f32_e32 v4, 0x4f7ffffe, v4
	s_delay_alu instid0(VALU_DEP_1) | instskip(SKIP_1) | instid1(VALU_DEP_1)
	v_cvt_u32_f32_e32 v4, v4
	s_wait_alu 0xfffe
	v_mul_lo_u32 v7, s20, v4
	s_delay_alu instid0(VALU_DEP_1) | instskip(NEXT) | instid1(VALU_DEP_1)
	v_mul_hi_u32 v7, v4, v7
	v_add_nc_u32_e32 v4, v4, v7
	s_delay_alu instid0(VALU_DEP_1) | instskip(NEXT) | instid1(VALU_DEP_1)
	v_mul_hi_u32 v4, v5, v4
	v_mul_lo_u32 v7, v4, s18
	v_add_nc_u32_e32 v8, 1, v4
	s_delay_alu instid0(VALU_DEP_2) | instskip(NEXT) | instid1(VALU_DEP_1)
	v_sub_nc_u32_e32 v7, v5, v7
	v_subrev_nc_u32_e32 v10, s18, v7
	v_cmp_le_u32_e32 vcc_lo, s18, v7
	s_wait_alu 0xfffd
	s_delay_alu instid0(VALU_DEP_2) | instskip(NEXT) | instid1(VALU_DEP_1)
	v_dual_cndmask_b32 v7, v7, v10 :: v_dual_cndmask_b32 v4, v4, v8
	v_cmp_le_u32_e32 vcc_lo, s18, v7
	s_delay_alu instid0(VALU_DEP_2) | instskip(SKIP_1) | instid1(VALU_DEP_1)
	v_add_nc_u32_e32 v8, 1, v4
	s_wait_alu 0xfffd
	v_dual_cndmask_b32 v7, v4, v8 :: v_dual_mov_b32 v8, v3
.LBB0_6:                                ;   in Loop: Header=BB0_2 Depth=1
	s_wait_alu 0xfffe
	s_or_b32 exec_lo, exec_lo, s2
	s_load_b64 s[20:21], s[12:13], 0x0
	s_delay_alu instid0(VALU_DEP_1)
	v_mul_lo_u32 v4, v8, s18
	v_mul_lo_u32 v12, v7, s19
	v_mad_co_u64_u32 v[10:11], null, v7, s18, 0
	s_add_nc_u64 s[14:15], s[14:15], 1
	s_add_nc_u64 s[12:13], s[12:13], 8
	s_wait_alu 0xfffe
	v_cmp_ge_u64_e64 s2, s[14:15], s[6:7]
	s_add_nc_u64 s[16:17], s[16:17], 8
	s_delay_alu instid0(VALU_DEP_2) | instskip(NEXT) | instid1(VALU_DEP_3)
	v_add3_u32 v4, v11, v12, v4
	v_sub_co_u32 v5, vcc_lo, v5, v10
	s_wait_alu 0xfffd
	s_delay_alu instid0(VALU_DEP_2) | instskip(SKIP_3) | instid1(VALU_DEP_2)
	v_sub_co_ci_u32_e32 v4, vcc_lo, v6, v4, vcc_lo
	s_and_b32 vcc_lo, exec_lo, s2
	s_wait_kmcnt 0x0
	v_mul_lo_u32 v6, s21, v5
	v_mul_lo_u32 v4, s20, v4
	v_mad_co_u64_u32 v[1:2], null, s20, v5, v[1:2]
	s_delay_alu instid0(VALU_DEP_1)
	v_add3_u32 v2, v6, v2, v4
	s_wait_alu 0xfffe
	s_cbranch_vccnz .LBB0_9
; %bb.7:                                ;   in Loop: Header=BB0_2 Depth=1
	v_dual_mov_b32 v5, v7 :: v_dual_mov_b32 v6, v8
	s_branch .LBB0_2
.LBB0_8:
	v_dual_mov_b32 v8, v6 :: v_dual_mov_b32 v7, v5
.LBB0_9:
	s_lshl_b64 s[2:3], s[6:7], 3
	v_mul_hi_u32 v3, 0x2d82d83, v0
	s_wait_alu 0xfffe
	s_add_nc_u64 s[2:3], s[10:11], s[2:3]
	s_load_b64 s[6:7], s[0:1], 0x20
	s_load_b64 s[2:3], s[2:3], 0x0
	v_and_b32_e32 v4, 1, v9
	s_delay_alu instid0(VALU_DEP_2) | instskip(NEXT) | instid1(VALU_DEP_2)
	v_mul_u32_u24_e32 v3, 0x5a, v3
	v_cmp_eq_u32_e64 s0, 1, v4
	s_delay_alu instid0(VALU_DEP_2) | instskip(NEXT) | instid1(VALU_DEP_1)
	v_sub_nc_u32_e32 v48, v0, v3
	v_add_nc_u32_e32 v53, 0x5a, v48
	v_add_nc_u32_e32 v55, 0xb4, v48
	;; [unrolled: 1-line block ×3, first 2 shown]
	s_wait_kmcnt 0x0
	v_cmp_gt_u64_e32 vcc_lo, s[6:7], v[7:8]
	v_mul_lo_u32 v3, s2, v8
	v_mul_lo_u32 v5, s3, v7
	v_mad_co_u64_u32 v[0:1], null, s2, v7, v[1:2]
	v_cmp_le_u64_e64 s1, s[6:7], v[7:8]
	s_delay_alu instid0(VALU_DEP_2) | instskip(NEXT) | instid1(VALU_DEP_2)
	v_add3_u32 v1, v5, v1, v3
	s_and_saveexec_b32 s2, s1
	s_wait_alu 0xfffe
	s_xor_b32 s1, exec_lo, s2
; %bb.10:
	v_add_nc_u32_e32 v53, 0x5a, v48
	v_add_nc_u32_e32 v55, 0xb4, v48
	;; [unrolled: 1-line block ×3, first 2 shown]
; %bb.11:
	s_wait_alu 0xfffe
	s_or_saveexec_b32 s1, s1
	v_cndmask_b32_e64 v2, 0, 0x385, s0
	v_lshlrev_b64_e32 v[50:51], 4, v[0:1]
	v_lshlrev_b32_e32 v54, 4, v48
	s_delay_alu instid0(VALU_DEP_3)
	v_lshlrev_b32_e32 v58, 4, v2
	s_wait_alu 0xfffe
	s_xor_b32 exec_lo, exec_lo, s1
	s_cbranch_execz .LBB0_13
; %bb.12:
	v_mov_b32_e32 v49, 0
	v_add_co_u32 v2, s0, s8, v50
	s_wait_alu 0xf1ff
	v_add_co_ci_u32_e64 v3, s0, s9, v51, s0
	s_delay_alu instid0(VALU_DEP_3) | instskip(SKIP_1) | instid1(VALU_DEP_2)
	v_lshlrev_b64_e32 v[0:1], 4, v[48:49]
	v_add3_u32 v40, 0, v58, v54
	v_add_co_u32 v36, s0, v2, v0
	s_wait_alu 0xf1ff
	s_delay_alu instid0(VALU_DEP_3)
	v_add_co_ci_u32_e64 v37, s0, v3, v1, s0
	s_clause 0x9
	global_load_b128 v[0:3], v[36:37], off
	global_load_b128 v[4:7], v[36:37], off offset:1440
	global_load_b128 v[8:11], v[36:37], off offset:2880
	;; [unrolled: 1-line block ×9, first 2 shown]
	s_wait_loadcnt 0x9
	ds_store_b128 v40, v[0:3]
	s_wait_loadcnt 0x8
	ds_store_b128 v40, v[4:7] offset:1440
	s_wait_loadcnt 0x7
	ds_store_b128 v40, v[8:11] offset:2880
	;; [unrolled: 2-line block ×9, first 2 shown]
.LBB0_13:
	s_or_b32 exec_lo, exec_lo, s1
	v_add_nc_u32_e32 v49, 0, v58
	v_add3_u32 v61, 0, v54, v58
	global_wb scope:SCOPE_SE
	s_wait_dscnt 0x0
	s_barrier_signal -1
	s_barrier_wait -1
	v_add_nc_u32_e32 v60, v49, v54
	global_inv scope:SCOPE_SE
	ds_load_b128 v[0:3], v61 offset:5760
	ds_load_b128 v[4:7], v61 offset:8640
	;; [unrolled: 1-line block ×8, first 2 shown]
	ds_load_b128 v[32:35], v60
	ds_load_b128 v[36:39], v61 offset:1440
	s_mov_b32 s10, 0x134454ff
	s_mov_b32 s11, 0xbfee6f0e
	;; [unrolled: 1-line block ×7, first 2 shown]
	s_wait_alu 0xfffe
	s_mov_b32 s2, s14
	s_mov_b32 s6, 0x372fe950
	;; [unrolled: 1-line block ×5, first 2 shown]
	s_wait_alu 0xfffe
	s_mov_b32 s16, s6
	s_mov_b32 s13, 0x3fe9e377
	;; [unrolled: 1-line block ×4, first 2 shown]
	s_wait_dscnt 0x8
	v_add_f64_e32 v[40:41], v[0:1], v[4:5]
	v_add_f64_e32 v[44:45], v[2:3], v[6:7]
	s_wait_dscnt 0x6
	v_add_f64_e32 v[42:43], v[12:13], v[8:9]
	v_add_f64_e32 v[46:47], v[14:15], v[10:11]
	;; [unrolled: 3-line block ×4, first 2 shown]
	v_add_f64_e32 v[62:63], v[16:17], v[28:29]
	v_add_f64_e32 v[64:65], v[22:23], v[26:27]
	;; [unrolled: 1-line block ×4, first 2 shown]
	v_add_f64_e64 v[76:77], v[14:15], -v[10:11]
	v_add_f64_e64 v[78:79], v[2:3], -v[6:7]
	;; [unrolled: 1-line block ×8, first 2 shown]
	global_wb scope:SCOPE_SE
	s_barrier_signal -1
	s_barrier_wait -1
	global_inv scope:SCOPE_SE
	v_fma_f64 v[40:41], v[40:41], -0.5, v[32:33]
	v_fma_f64 v[32:33], v[42:43], -0.5, v[32:33]
	;; [unrolled: 1-line block ×4, first 2 shown]
	v_add_f64_e64 v[44:45], v[0:1], -v[4:5]
	v_add_f64_e64 v[46:47], v[14:15], -v[2:3]
	;; [unrolled: 1-line block ×3, first 2 shown]
	v_add_f64_e32 v[0:1], v[68:69], v[0:1]
	v_add_f64_e32 v[2:3], v[70:71], v[2:3]
	v_add_f64_e64 v[68:69], v[18:19], -v[22:23]
	v_add_f64_e64 v[18:19], v[22:23], -v[18:19]
	;; [unrolled: 1-line block ×3, first 2 shown]
	v_add_f64_e32 v[22:23], v[74:75], v[22:23]
	v_add_f64_e64 v[74:75], v[10:11], -v[6:7]
	v_fma_f64 v[56:57], v[56:57], -0.5, v[36:37]
	v_fma_f64 v[36:37], v[62:63], -0.5, v[36:37]
	;; [unrolled: 1-line block ×4, first 2 shown]
	v_add_f64_e64 v[64:65], v[16:17], -v[20:21]
	v_add_f64_e64 v[66:67], v[20:21], -v[16:17]
	v_add_f64_e64 v[16:17], v[16:17], -v[28:29]
	v_add_f64_e32 v[72:73], v[72:73], v[20:21]
	v_add_f64_e64 v[20:21], v[20:21], -v[24:25]
	v_add_f64_e32 v[80:81], v[80:81], v[82:83]
	v_add_f64_e64 v[82:83], v[28:29], -v[24:25]
	;; [unrolled: 2-line block ×3, first 2 shown]
	v_add_f64_e32 v[0:1], v[0:1], v[4:5]
	v_add_f64_e32 v[2:3], v[2:3], v[6:7]
	;; [unrolled: 1-line block ×3, first 2 shown]
	v_add_f64_e64 v[74:75], v[26:27], -v[30:31]
	v_add_f64_e32 v[4:5], v[72:73], v[24:25]
	v_add_f64_e32 v[64:65], v[64:65], v[82:83]
	v_fma_f64 v[82:83], v[16:17], s[0:1], v[62:63]
	v_fma_f64 v[62:63], v[16:17], s[10:11], v[62:63]
	v_add_f64_e32 v[68:69], v[68:69], v[86:87]
	v_fma_f64 v[86:87], v[20:21], s[10:11], v[38:39]
	v_fma_f64 v[38:39], v[20:21], s[0:1], v[38:39]
	v_add_f64_e32 v[8:9], v[0:1], v[8:9]
	v_and_b32_e32 v0, 0xff, v48
	s_delay_alu instid0(VALU_DEP_1)
	v_mul_lo_u16 v59, 0xcd, v0
	v_add_f64_e32 v[18:19], v[18:19], v[74:75]
	v_fma_f64 v[74:75], v[88:89], s[10:11], v[56:57]
	v_fma_f64 v[56:57], v[88:89], s[0:1], v[56:57]
	v_add_f64_e32 v[4:5], v[4:5], v[28:29]
	v_fma_f64 v[82:83], v[20:21], s[2:3], v[82:83]
	v_fma_f64 v[20:21], v[20:21], s[14:15], v[62:63]
	v_add_f64_e64 v[62:63], v[24:25], -v[28:29]
	v_fma_f64 v[86:87], v[16:17], s[2:3], v[86:87]
	v_fma_f64 v[16:17], v[16:17], s[14:15], v[38:39]
	;; [unrolled: 1-line block ×8, first 2 shown]
	v_add_f64_e32 v[0:1], v[8:9], v[4:5]
	v_fma_f64 v[82:83], v[68:69], s[6:7], v[82:83]
	v_fma_f64 v[20:21], v[68:69], s[6:7], v[20:21]
	v_add_f64_e32 v[62:63], v[66:67], v[62:63]
	v_add_f64_e64 v[66:67], v[6:7], -v[10:11]
	v_fma_f64 v[68:69], v[12:13], s[0:1], v[42:43]
	v_fma_f64 v[38:39], v[88:89], s[14:15], v[38:39]
	;; [unrolled: 1-line block ×10, first 2 shown]
	v_add_f64_e32 v[6:7], v[22:23], v[26:27]
	v_add_f64_e32 v[10:11], v[2:3], v[10:11]
	v_fma_f64 v[74:75], v[64:65], s[6:7], v[74:75]
	v_fma_f64 v[22:23], v[78:79], s[14:15], v[70:71]
	v_fma_f64 v[24:25], v[78:79], s[2:3], v[40:41]
	v_add_f64_e32 v[14:15], v[14:15], v[66:67]
	v_fma_f64 v[40:41], v[44:45], s[2:3], v[68:69]
	v_fma_f64 v[38:39], v[62:63], s[6:7], v[38:39]
	v_fma_f64 v[36:37], v[62:63], s[6:7], v[36:37]
	v_fma_f64 v[26:27], v[76:77], s[14:15], v[88:89]
	v_fma_f64 v[42:43], v[44:45], s[14:15], v[42:43]
	v_mul_f64_e32 v[44:45], s[14:15], v[82:83]
	v_mul_f64_e32 v[62:63], s[10:11], v[16:17]
	v_fma_f64 v[18:19], v[12:13], s[2:3], v[18:19]
	v_fma_f64 v[12:13], v[12:13], s[14:15], v[34:35]
	;; [unrolled: 1-line block ×3, first 2 shown]
	v_mul_f64_e32 v[56:57], s[10:11], v[86:87]
	v_mul_f64_e32 v[64:65], s[14:15], v[20:21]
	;; [unrolled: 1-line block ×3, first 2 shown]
	v_fma_f64 v[32:33], v[76:77], s[2:3], v[32:33]
	v_mul_f64_e32 v[16:17], s[16:17], v[16:17]
	s_wait_alu 0xfffe
	v_mul_f64_e32 v[20:21], s[18:19], v[20:21]
	v_add_f64_e32 v[28:29], v[6:7], v[30:31]
	v_add_f64_e64 v[6:7], v[8:9], -v[4:5]
	v_lshrrev_b16 v4, 11, v59
	s_delay_alu instid0(VALU_DEP_1)
	v_mul_lo_u16 v5, v4, 10
	v_mul_f64_e32 v[66:67], s[2:3], v[74:75]
	v_and_b32_e32 v4, 0xffff, v4
	v_fma_f64 v[30:31], v[80:81], s[6:7], v[22:23]
	v_fma_f64 v[70:71], v[80:81], s[6:7], v[24:25]
	v_sub_nc_u16 v5, v48, v5
	s_delay_alu instid0(VALU_DEP_4) | instskip(NEXT) | instid1(VALU_DEP_2)
	v_mad_u32_u24 v4, 0x640, v4, 0
	v_and_b32_e32 v5, 0xff, v5
	v_fma_f64 v[40:41], v[46:47], s[6:7], v[40:41]
	v_fma_f64 v[72:73], v[84:85], s[6:7], v[26:27]
	;; [unrolled: 1-line block ×11, first 2 shown]
	v_add_f64_e32 v[2:3], v[10:11], v[28:29]
	v_add_f64_e64 v[8:9], v[10:11], -v[28:29]
	v_fma_f64 v[64:65], v[82:83], s[12:13], v[66:67]
	v_fma_f64 v[66:67], v[38:39], s[0:1], v[68:69]
	;; [unrolled: 1-line block ×3, first 2 shown]
	v_add_f64_e32 v[10:11], v[30:31], v[26:27]
	v_add_f64_e64 v[26:27], v[30:31], -v[26:27]
	v_add_f64_e32 v[14:15], v[72:73], v[44:45]
	v_add_f64_e64 v[30:31], v[72:73], -v[44:45]
	v_add_f64_e32 v[22:23], v[70:71], v[62:63]
	v_add_f64_e32 v[18:19], v[32:33], v[56:57]
	;; [unrolled: 1-line block ×3, first 2 shown]
	v_add_f64_e64 v[34:35], v[32:33], -v[56:57]
	v_add_f64_e64 v[36:37], v[76:77], -v[36:37]
	;; [unrolled: 1-line block ×3, first 2 shown]
	v_lshl_add_u32 v63, v55, 4, v49
	v_lshl_add_u32 v62, v52, 4, v49
	v_add_f64_e32 v[12:13], v[40:41], v[64:65]
	v_add_f64_e32 v[16:17], v[46:47], v[66:67]
	v_add_f64_e32 v[24:25], v[42:43], v[68:69]
	v_add_f64_e64 v[28:29], v[40:41], -v[64:65]
	v_add_f64_e64 v[32:33], v[46:47], -v[66:67]
	v_add_f64_e64 v[40:41], v[42:43], -v[68:69]
	v_mul_u32_u24_e32 v43, 9, v5
	v_mad_u32_u24 v42, 0x90, v48, v61
	v_lshl_add_u32 v64, v53, 4, v49
	v_lshlrev_b32_e32 v5, 4, v5
	ds_store_b128 v42, v[0:3]
	ds_store_b128 v42, v[10:13] offset:16
	ds_store_b128 v42, v[14:17] offset:32
	;; [unrolled: 1-line block ×9, first 2 shown]
	v_lshlrev_b32_e32 v43, 4, v43
	global_wb scope:SCOPE_SE
	s_wait_dscnt 0x0
	s_barrier_signal -1
	s_barrier_wait -1
	global_inv scope:SCOPE_SE
	s_clause 0x8
	global_load_b128 v[0:3], v43, s[4:5]
	global_load_b128 v[6:9], v43, s[4:5] offset:16
	global_load_b128 v[10:13], v43, s[4:5] offset:48
	;; [unrolled: 1-line block ×8, first 2 shown]
	ds_load_b128 v[38:41], v64
	ds_load_b128 v[42:45], v61 offset:12960
	ds_load_b128 v[65:68], v63
	ds_load_b128 v[69:72], v61 offset:5760
	ds_load_b128 v[73:76], v62
	ds_load_b128 v[77:80], v60
	ds_load_b128 v[81:84], v61 offset:8640
	v_add3_u32 v4, v4, v5, v58
	s_wait_loadcnt_dscnt 0x806
	v_mul_f64_e32 v[46:47], v[40:41], v[2:3]
	v_mul_f64_e32 v[2:3], v[38:39], v[2:3]
	s_wait_loadcnt_dscnt 0x704
	v_mul_f64_e32 v[56:57], v[67:68], v[8:9]
	v_mul_f64_e32 v[8:9], v[65:66], v[8:9]
	;; [unrolled: 3-line block ×3, first 2 shown]
	v_fma_f64 v[38:39], v[38:39], v[0:1], v[46:47]
	s_wait_loadcnt_dscnt 0x500
	v_mul_f64_e32 v[46:47], v[83:84], v[16:17]
	v_mul_f64_e32 v[16:17], v[81:82], v[16:17]
	v_fma_f64 v[40:41], v[40:41], v[0:1], -v[2:3]
	ds_load_b128 v[0:3], v61 offset:7200
	v_fma_f64 v[56:57], v[65:66], v[6:7], v[56:57]
	v_fma_f64 v[65:66], v[67:68], v[6:7], -v[8:9]
	ds_load_b128 v[6:9], v61 offset:11520
	v_fma_f64 v[67:68], v[69:70], v[10:11], v[85:86]
	v_fma_f64 v[69:70], v[71:72], v[10:11], -v[12:13]
	ds_load_b128 v[10:13], v61 offset:10080
	s_wait_loadcnt 0x3
	v_mul_f64_e32 v[85:86], v[75:76], v[24:25]
	v_mul_f64_e32 v[24:25], v[73:74], v[24:25]
	global_wb scope:SCOPE_SE
	s_wait_loadcnt_dscnt 0x0
	s_barrier_signal -1
	s_barrier_wait -1
	global_inv scope:SCOPE_SE
	v_mul_f64_e32 v[71:72], v[8:9], v[20:21]
	v_mul_f64_e32 v[20:21], v[6:7], v[20:21]
	v_fma_f64 v[46:47], v[81:82], v[14:15], v[46:47]
	v_fma_f64 v[14:15], v[83:84], v[14:15], -v[16:17]
	v_mul_f64_e32 v[16:17], v[2:3], v[28:29]
	v_mul_f64_e32 v[81:82], v[12:13], v[32:33]
	v_mul_f64_e32 v[83:84], v[44:45], v[36:37]
	v_add_f64_e32 v[89:90], v[77:78], v[56:57]
	v_fma_f64 v[6:7], v[6:7], v[18:19], v[71:72]
	v_fma_f64 v[8:9], v[8:9], v[18:19], -v[20:21]
	v_mul_f64_e32 v[18:19], v[0:1], v[28:29]
	v_mul_f64_e32 v[20:21], v[10:11], v[32:33]
	;; [unrolled: 1-line block ×3, first 2 shown]
	v_fma_f64 v[32:33], v[73:74], v[22:23], v[85:86]
	v_fma_f64 v[22:23], v[75:76], v[22:23], -v[24:25]
	v_add_f64_e64 v[36:37], v[67:68], -v[56:57]
	v_add_f64_e64 v[73:74], v[69:70], -v[65:66]
	v_add_f64_e32 v[24:25], v[69:70], v[14:15]
	v_fma_f64 v[0:1], v[0:1], v[26:27], v[16:17]
	v_fma_f64 v[10:11], v[10:11], v[30:31], v[81:82]
	;; [unrolled: 1-line block ×3, first 2 shown]
	v_add_f64_e32 v[89:90], v[89:90], v[67:68]
	v_add_f64_e64 v[42:43], v[46:47], -v[6:7]
	v_add_f64_e64 v[71:72], v[8:9], -v[14:15]
	v_fma_f64 v[2:3], v[2:3], v[26:27], -v[18:19]
	v_fma_f64 v[12:13], v[12:13], v[30:31], -v[20:21]
	v_add_f64_e32 v[18:19], v[67:68], v[46:47]
	v_add_f64_e32 v[20:21], v[56:57], v[6:7]
	;; [unrolled: 1-line block ×3, first 2 shown]
	v_fma_f64 v[28:29], v[44:45], v[34:35], -v[28:29]
	v_add_f64_e64 v[30:31], v[56:57], -v[67:68]
	v_add_f64_e64 v[34:35], v[6:7], -v[46:47]
	;; [unrolled: 1-line block ×5, first 2 shown]
	v_fma_f64 v[24:25], v[24:25], -0.5, v[79:80]
	v_add_f64_e64 v[81:82], v[32:33], -v[0:1]
	v_add_f64_e32 v[85:86], v[0:1], v[10:11]
	v_add_f64_e64 v[83:84], v[16:17], -v[10:11]
	v_add_f64_e32 v[87:88], v[32:33], v[16:17]
	v_add_f64_e32 v[46:47], v[89:90], v[46:47]
	v_add_f64_e64 v[56:57], v[56:57], -v[6:7]
	v_add_f64_e32 v[36:37], v[36:37], v[42:43]
	v_add_f64_e64 v[42:43], v[22:23], -v[2:3]
	v_fma_f64 v[18:19], v[18:19], -0.5, v[77:78]
	v_fma_f64 v[20:21], v[20:21], -0.5, v[77:78]
	;; [unrolled: 1-line block ×3, first 2 shown]
	v_add_f64_e32 v[77:78], v[79:80], v[65:66]
	v_add_f64_e64 v[79:80], v[0:1], -v[32:33]
	v_add_f64_e32 v[30:31], v[30:31], v[34:35]
	v_add_f64_e64 v[34:35], v[10:11], -v[16:17]
	;; [unrolled: 2-line block ×3, first 2 shown]
	v_add_f64_e32 v[73:74], v[73:74], v[75:76]
	v_add_f64_e32 v[75:76], v[2:3], v[12:13]
	v_fma_f64 v[85:86], v[85:86], -0.5, v[38:39]
	v_add_f64_e32 v[81:82], v[81:82], v[83:84]
	v_add_f64_e32 v[83:84], v[22:23], v[28:29]
	v_fma_f64 v[87:88], v[87:88], -0.5, v[38:39]
	v_add_f64_e32 v[38:39], v[38:39], v[32:33]
	v_add_f64_e64 v[32:33], v[32:33], -v[16:17]
	v_add_f64_e64 v[65:66], v[65:66], -v[8:9]
	v_add_f64_e32 v[46:47], v[46:47], v[6:7]
	v_add_f64_e32 v[77:78], v[77:78], v[69:70]
	v_add_f64_e64 v[69:70], v[69:70], -v[14:15]
	v_add_f64_e32 v[34:35], v[79:80], v[34:35]
	v_add_f64_e64 v[79:80], v[2:3], -v[22:23]
	;; [unrolled: 2-line block ×3, first 2 shown]
	v_fma_f64 v[75:76], v[75:76], -0.5, v[40:41]
	v_fma_f64 v[83:84], v[83:84], -0.5, v[40:41]
	v_add_f64_e32 v[40:41], v[40:41], v[22:23]
	v_add_f64_e32 v[38:39], v[38:39], v[0:1]
	v_add_f64_e64 v[0:1], v[0:1], -v[10:11]
	v_add_f64_e64 v[22:23], v[22:23], -v[28:29]
	v_add_f64_e32 v[14:15], v[77:78], v[14:15]
	v_add_f64_e32 v[71:72], v[79:80], v[71:72]
	v_fma_f64 v[79:80], v[32:33], s[0:1], v[75:76]
	v_fma_f64 v[75:76], v[32:33], s[10:11], v[75:76]
	v_add_f64_e32 v[40:41], v[40:41], v[2:3]
	v_add_f64_e64 v[2:3], v[2:3], -v[12:13]
	v_fma_f64 v[89:90], v[0:1], s[10:11], v[83:84]
	v_fma_f64 v[83:84], v[0:1], s[0:1], v[83:84]
	v_add_f64_e32 v[10:11], v[38:39], v[10:11]
	v_add_f64_e32 v[14:15], v[14:15], v[8:9]
	v_fma_f64 v[79:80], v[0:1], s[2:3], v[79:80]
	v_fma_f64 v[0:1], v[0:1], s[14:15], v[75:76]
	v_fma_f64 v[75:76], v[22:23], s[10:11], v[85:86]
	v_fma_f64 v[85:86], v[22:23], s[0:1], v[85:86]
	v_add_f64_e32 v[12:13], v[40:41], v[12:13]
	v_fma_f64 v[89:90], v[32:33], s[2:3], v[89:90]
	v_fma_f64 v[32:33], v[32:33], s[14:15], v[83:84]
	v_fma_f64 v[83:84], v[2:3], s[0:1], v[87:88]
	v_fma_f64 v[87:88], v[2:3], s[10:11], v[87:88]
	;; [unrolled: 5-line block ×3, first 2 shown]
	v_fma_f64 v[85:86], v[65:66], s[10:11], v[18:19]
	v_fma_f64 v[18:19], v[65:66], s[0:1], v[18:19]
	;; [unrolled: 1-line block ×12, first 2 shown]
	v_add_f64_e32 v[12:13], v[12:13], v[28:29]
	v_add_f64_e32 v[6:7], v[46:47], v[10:11]
	v_add_f64_e64 v[10:11], v[46:47], -v[10:11]
	v_mul_f64_e32 v[77:78], s[12:13], v[79:80]
	v_fma_f64 v[2:3], v[81:82], s[6:7], v[2:3]
	v_fma_f64 v[38:39], v[69:70], s[14:15], v[85:86]
	;; [unrolled: 1-line block ×9, first 2 shown]
	v_mul_f64_e32 v[34:35], s[14:15], v[79:80]
	v_mul_f64_e32 v[69:70], s[10:11], v[89:90]
	v_fma_f64 v[65:66], v[56:57], s[2:3], v[71:72]
	v_fma_f64 v[26:27], v[56:57], s[14:15], v[26:27]
	;; [unrolled: 1-line block ×3, first 2 shown]
	v_mul_f64_e32 v[79:80], s[6:7], v[89:90]
	v_mul_f64_e32 v[71:72], s[10:11], v[32:33]
	;; [unrolled: 1-line block ×5, first 2 shown]
	v_add_f64_e32 v[8:9], v[14:15], v[12:13]
	v_add_f64_e64 v[12:13], v[14:15], -v[12:13]
	v_fma_f64 v[38:39], v[30:31], s[6:7], v[38:39]
	v_fma_f64 v[81:82], v[30:31], s[6:7], v[18:19]
	;; [unrolled: 1-line block ×16, first 2 shown]
	v_cmp_gt_u32_e64 s0, 30, v48
	v_add_f64_e32 v[14:15], v[38:39], v[30:31]
	v_add_f64_e32 v[16:17], v[42:43], v[56:57]
	;; [unrolled: 1-line block ×8, first 2 shown]
	v_add_f64_e64 v[30:31], v[38:39], -v[30:31]
	v_add_f64_e64 v[32:33], v[42:43], -v[56:57]
	;; [unrolled: 1-line block ×8, first 2 shown]
	ds_store_b128 v4, v[6:9]
	ds_store_b128 v4, v[14:17] offset:160
	ds_store_b128 v4, v[18:21] offset:320
	;; [unrolled: 1-line block ×9, first 2 shown]
	global_wb scope:SCOPE_SE
	s_wait_dscnt 0x0
	s_barrier_signal -1
	s_barrier_wait -1
	global_inv scope:SCOPE_SE
	ds_load_b128 v[12:15], v60
	ds_load_b128 v[44:47], v61 offset:4800
	ds_load_b128 v[40:43], v61 offset:9600
	ds_load_b128 v[32:35], v61 offset:11040
	ds_load_b128 v[4:7], v63
	ds_load_b128 v[36:39], v61 offset:6240
	ds_load_b128 v[20:23], v61 offset:7680
	ds_load_b128 v[8:11], v64
	ds_load_b128 v[16:19], v61 offset:12480
                                        ; implicit-def: $vgpr30_vgpr31
                                        ; implicit-def: $vgpr26_vgpr27
	s_and_saveexec_b32 s1, s0
	s_cbranch_execz .LBB0_15
; %bb.14:
	ds_load_b128 v[0:3], v62
	ds_load_b128 v[24:27], v61 offset:9120
	ds_load_b128 v[28:31], v61 offset:13920
.LBB0_15:
	s_wait_alu 0xfffe
	s_or_b32 exec_lo, exec_lo, s1
	v_dual_mov_b32 v74, 0 :: v_dual_lshlrev_b32 v73, 1, v48
	v_add_nc_u32_e32 v59, -10, v48
	v_lshrrev_b16 v79, 2, v55
	v_lshrrev_b16 v83, 2, v52
	s_mov_b32 s2, 0xe8584caa
	v_lshlrev_b64_e32 v[56:57], 4, v[73:74]
	s_mov_b32 s3, 0xbfebb67a
	v_and_b32_e32 v79, 0xffff, v79
	s_mov_b32 s7, 0x3febb67a
	s_wait_alu 0xfffe
	s_mov_b32 s6, s2
	v_add_co_u32 v56, s1, s4, v56
	s_wait_alu 0xf1ff
	v_add_co_ci_u32_e64 v57, s1, s5, v57, s1
	v_cmp_gt_u32_e64 s1, 10, v48
	v_mul_u32_u24_e32 v79, 0x147b, v79
	s_clause 0x1
	global_load_b128 v[65:68], v[56:57], off offset:1440
	global_load_b128 v[69:72], v[56:57], off offset:1456
	s_wait_alu 0xf1ff
	v_cndmask_b32_e64 v59, v59, v53, s1
	v_lshrrev_b32_e32 v103, 17, v79
	s_delay_alu instid0(VALU_DEP_2) | instskip(NEXT) | instid1(VALU_DEP_2)
	v_lshlrev_b32_e32 v73, 1, v59
	v_mul_lo_u16 v79, 0x64, v103
	s_delay_alu instid0(VALU_DEP_2) | instskip(NEXT) | instid1(VALU_DEP_2)
	v_lshlrev_b64_e32 v[73:74], 4, v[73:74]
	v_sub_nc_u16 v79, v55, v79
	s_delay_alu instid0(VALU_DEP_1) | instskip(NEXT) | instid1(VALU_DEP_3)
	v_and_b32_e32 v104, 0xffff, v79
	v_add_co_u32 v77, s1, s4, v73
	s_wait_alu 0xf1ff
	s_delay_alu instid0(VALU_DEP_4) | instskip(NEXT) | instid1(VALU_DEP_3)
	v_add_co_ci_u32_e64 v78, s1, s5, v74, s1
	v_lshlrev_b32_e32 v84, 5, v104
	v_cmp_lt_u32_e64 s1, 9, v48
	global_load_b128 v[73:76], v[77:78], off offset:1440
	s_wait_loadcnt_dscnt 0x207
	v_mul_f64_e32 v[81:82], v[46:47], v[67:68]
	v_mul_f64_e32 v[67:68], v[44:45], v[67:68]
	s_wait_loadcnt_dscnt 0x106
	v_mul_f64_e32 v[85:86], v[42:43], v[71:72]
	v_mul_f64_e32 v[71:72], v[40:41], v[71:72]
	s_delay_alu instid0(VALU_DEP_4) | instskip(NEXT) | instid1(VALU_DEP_4)
	v_fma_f64 v[87:88], v[44:45], v[65:66], v[81:82]
	v_fma_f64 v[45:46], v[46:47], v[65:66], -v[67:68]
	s_clause 0x1
	global_load_b128 v[65:68], v84, s[4:5] offset:1440
	global_load_b128 v[77:80], v[77:78], off offset:1456
	v_and_b32_e32 v44, 0xffff, v83
	global_load_b128 v[81:84], v84, s[4:5] offset:1456
	v_fma_f64 v[85:86], v[40:41], v[69:70], v[85:86]
	v_fma_f64 v[89:90], v[42:43], v[69:70], -v[71:72]
	s_wait_loadcnt_dscnt 0x303
	v_mul_f64_e32 v[91:92], v[38:39], v[75:76]
	v_mul_u32_u24_e32 v44, 0x147b, v44
	v_mul_f64_e32 v[75:76], v[36:37], v[75:76]
	s_delay_alu instid0(VALU_DEP_2) | instskip(NEXT) | instid1(VALU_DEP_1)
	v_lshrrev_b32_e32 v44, 17, v44
	v_mul_lo_u16 v44, 0x64, v44
	s_delay_alu instid0(VALU_DEP_1) | instskip(NEXT) | instid1(VALU_DEP_1)
	v_sub_nc_u16 v44, v52, v44
	v_and_b32_e32 v44, 0xffff, v44
	s_delay_alu instid0(VALU_DEP_1)
	v_lshlrev_b32_e32 v47, 5, v44
	s_clause 0x1
	global_load_b128 v[40:43], v47, s[4:5] offset:1440
	global_load_b128 v[69:72], v47, s[4:5] offset:1456
	v_lshlrev_b32_e32 v47, 4, v104
	global_wb scope:SCOPE_SE
	s_wait_loadcnt_dscnt 0x0
	s_barrier_signal -1
	s_barrier_wait -1
	global_inv scope:SCOPE_SE
	v_fma_f64 v[36:37], v[36:37], v[73:74], v[91:92]
	v_fma_f64 v[38:39], v[38:39], v[73:74], -v[75:76]
	v_mul_f64_e32 v[73:74], v[34:35], v[79:80]
	v_mul_f64_e32 v[75:76], v[32:33], v[79:80]
	;; [unrolled: 1-line block ×4, first 2 shown]
	s_delay_alu instid0(VALU_DEP_4) | instskip(NEXT) | instid1(VALU_DEP_4)
	v_fma_f64 v[32:33], v[32:33], v[77:78], v[73:74]
	v_fma_f64 v[34:35], v[34:35], v[77:78], -v[75:76]
	v_mul_f64_e32 v[73:74], v[18:19], v[83:84]
	v_mul_f64_e32 v[75:76], v[16:17], v[83:84]
	;; [unrolled: 1-line block ×4, first 2 shown]
	v_fma_f64 v[20:21], v[20:21], v[65:66], v[79:80]
	v_fma_f64 v[22:23], v[22:23], v[65:66], -v[67:68]
	v_mul_f64_e32 v[42:43], v[24:25], v[42:43]
	v_mul_f64_e32 v[65:66], v[28:29], v[71:72]
	v_add_f64_e32 v[79:80], v[14:15], v[45:46]
	v_fma_f64 v[67:68], v[16:17], v[81:82], v[73:74]
	v_fma_f64 v[71:72], v[18:19], v[81:82], -v[75:76]
	v_fma_f64 v[16:17], v[24:25], v[40:41], v[77:78]
	v_fma_f64 v[24:25], v[28:29], v[69:70], v[83:84]
	v_add_f64_e32 v[28:29], v[87:88], v[85:86]
	v_add_f64_e32 v[77:78], v[12:13], v[87:88]
	v_fma_f64 v[18:19], v[26:27], v[40:41], -v[42:43]
	v_fma_f64 v[26:27], v[30:31], v[69:70], -v[65:66]
	v_add_f64_e32 v[40:41], v[36:37], v[32:33]
	v_add_f64_e32 v[42:43], v[38:39], v[34:35]
	;; [unrolled: 1-line block ×7, first 2 shown]
	v_add_f64_e64 v[38:39], v[38:39], -v[34:35]
	v_add_f64_e64 v[45:46], v[45:46], -v[89:90]
	;; [unrolled: 1-line block ×3, first 2 shown]
	v_add_f64_e32 v[65:66], v[20:21], v[67:68]
	v_add_f64_e32 v[69:70], v[22:23], v[71:72]
	;; [unrolled: 1-line block ×4, first 2 shown]
	v_add_f64_e64 v[99:100], v[20:21], -v[67:68]
	v_add_f64_e64 v[101:102], v[16:17], -v[24:25]
	v_add_f64_e32 v[97:98], v[2:3], v[18:19]
	v_add_f64_e32 v[75:76], v[18:19], v[26:27]
	v_fma_f64 v[8:9], v[40:41], -0.5, v[8:9]
	v_add_f64_e64 v[40:41], v[36:37], -v[32:33]
	v_fma_f64 v[10:11], v[42:43], -0.5, v[10:11]
	v_add_f64_e64 v[42:43], v[22:23], -v[71:72]
	v_fma_f64 v[28:29], v[28:29], -0.5, v[12:13]
	v_fma_f64 v[30:31], v[30:31], -0.5, v[14:15]
	v_add_f64_e32 v[12:13], v[77:78], v[85:86]
	v_add_f64_e32 v[14:15], v[79:80], v[89:90]
	;; [unrolled: 1-line block ×5, first 2 shown]
	v_fma_f64 v[4:5], v[65:66], -0.5, v[4:5]
	v_fma_f64 v[6:7], v[69:70], -0.5, v[6:7]
	v_add_f64_e64 v[69:70], v[18:19], -v[26:27]
	v_fma_f64 v[73:74], v[73:74], -0.5, v[0:1]
	v_add_f64_e32 v[18:19], v[83:84], v[34:35]
	v_add_f64_e32 v[0:1], v[95:96], v[24:25]
	v_fma_f64 v[75:76], v[75:76], -0.5, v[2:3]
	v_add_f64_e32 v[2:3], v[97:98], v[26:27]
	v_fma_f64 v[32:33], v[38:39], s[2:3], v[8:9]
	s_wait_alu 0xfffe
	v_fma_f64 v[36:37], v[38:39], s[6:7], v[8:9]
	v_fma_f64 v[34:35], v[40:41], s[6:7], v[10:11]
	;; [unrolled: 1-line block ×7, first 2 shown]
	s_wait_alu 0xf1ff
	v_cndmask_b32_e64 v45, 0, 0x12c0, s1
	v_lshlrev_b32_e32 v46, 4, v59
	s_delay_alu instid0(VALU_DEP_2) | instskip(NEXT) | instid1(VALU_DEP_1)
	v_add_nc_u32_e32 v45, 0, v45
	v_add3_u32 v45, v45, v46, v58
	v_mad_u32_u24 v46, 0x12c0, v103, 0
	s_delay_alu instid0(VALU_DEP_1)
	v_add3_u32 v46, v46, v47, v58
	v_fma_f64 v[40:41], v[42:43], s[2:3], v[4:5]
	v_fma_f64 v[65:66], v[42:43], s[6:7], v[4:5]
	;; [unrolled: 1-line block ×6, first 2 shown]
	ds_store_b128 v61, v[12:15]
	ds_store_b128 v61, v[24:27] offset:1600
	ds_store_b128 v61, v[28:31] offset:3200
	ds_store_b128 v45, v[16:19]
	ds_store_b128 v45, v[32:35] offset:1600
	ds_store_b128 v45, v[36:39] offset:3200
	;; [unrolled: 3-line block ×3, first 2 shown]
	v_fma_f64 v[6:7], v[101:102], s[6:7], v[75:76]
	v_fma_f64 v[10:11], v[101:102], s[2:3], v[75:76]
	s_and_saveexec_b32 s1, s0
	s_cbranch_execz .LBB0_17
; %bb.16:
	v_lshlrev_b32_e32 v12, 4, v44
	s_delay_alu instid0(VALU_DEP_1)
	v_add3_u32 v12, 0, v12, v58
	ds_store_b128 v12, v[0:3] offset:9600
	ds_store_b128 v12, v[4:7] offset:11200
	;; [unrolled: 1-line block ×3, first 2 shown]
.LBB0_17:
	s_wait_alu 0xfffe
	s_or_b32 exec_lo, exec_lo, s1
	global_wb scope:SCOPE_SE
	s_wait_dscnt 0x0
	s_barrier_signal -1
	s_barrier_wait -1
	global_inv scope:SCOPE_SE
	ds_load_b128 v[16:19], v60
	ds_load_b128 v[32:35], v61 offset:4800
	ds_load_b128 v[36:39], v61 offset:9600
	;; [unrolled: 1-line block ×3, first 2 shown]
	ds_load_b128 v[12:15], v63
	ds_load_b128 v[44:47], v61 offset:6240
	ds_load_b128 v[28:31], v61 offset:7680
	ds_load_b128 v[20:23], v64
	ds_load_b128 v[40:43], v61 offset:12480
	s_and_saveexec_b32 s1, s0
	s_cbranch_execz .LBB0_19
; %bb.18:
	ds_load_b128 v[0:3], v62
	ds_load_b128 v[4:7], v61 offset:9120
	ds_load_b128 v[8:11], v61 offset:13920
.LBB0_19:
	s_wait_alu 0xfffe
	s_or_b32 exec_lo, exec_lo, s1
	v_dual_mov_b32 v59, 0 :: v_dual_lshlrev_b32 v58, 1, v53
	s_clause 0x1
	global_load_b128 v[65:68], v[56:57], off offset:4640
	global_load_b128 v[69:72], v[56:57], off offset:4656
	s_mov_b32 s6, s2
	v_lshlrev_b64_e32 v[73:74], 4, v[58:59]
	v_lshlrev_b32_e32 v58, 1, v55
	s_delay_alu instid0(VALU_DEP_1) | instskip(NEXT) | instid1(VALU_DEP_3)
	v_lshlrev_b64_e32 v[56:57], 4, v[58:59]
	v_add_co_u32 v77, s1, s4, v73
	s_wait_alu 0xf1ff
	s_delay_alu instid0(VALU_DEP_4) | instskip(NEXT) | instid1(VALU_DEP_3)
	v_add_co_ci_u32_e64 v78, s1, s5, v74, s1
	v_add_co_u32 v56, s1, s4, v56
	s_wait_alu 0xf1ff
	v_add_co_ci_u32_e64 v57, s1, s5, v57, s1
	s_clause 0x3
	global_load_b128 v[73:76], v[77:78], off offset:4640
	global_load_b128 v[77:80], v[77:78], off offset:4656
	;; [unrolled: 1-line block ×4, first 2 shown]
	global_wb scope:SCOPE_SE
	s_wait_loadcnt_dscnt 0x0
	s_barrier_signal -1
	s_barrier_wait -1
	global_inv scope:SCOPE_SE
	v_mul_f64_e32 v[56:57], v[34:35], v[67:68]
	v_mul_f64_e32 v[89:90], v[38:39], v[71:72]
	;; [unrolled: 1-line block ×12, first 2 shown]
	v_fma_f64 v[32:33], v[32:33], v[65:66], v[56:57]
	v_fma_f64 v[36:37], v[36:37], v[69:70], v[89:90]
	v_fma_f64 v[34:35], v[34:35], v[65:66], -v[67:68]
	v_fma_f64 v[38:39], v[38:39], v[69:70], -v[71:72]
	v_fma_f64 v[44:45], v[44:45], v[73:74], v[91:92]
	v_fma_f64 v[24:25], v[24:25], v[77:78], v[93:94]
	v_fma_f64 v[46:47], v[46:47], v[73:74], -v[75:76]
	v_fma_f64 v[26:27], v[26:27], v[77:78], -v[79:80]
	;; [unrolled: 4-line block ×3, first 2 shown]
	v_add_f64_e32 v[75:76], v[16:17], v[32:33]
	v_add_f64_e32 v[56:57], v[32:33], v[36:37]
	v_add_f64_e64 v[32:33], v[32:33], -v[36:37]
	v_add_f64_e32 v[65:66], v[34:35], v[38:39]
	v_add_f64_e64 v[77:78], v[34:35], -v[38:39]
	v_add_f64_e32 v[34:35], v[18:19], v[34:35]
	v_add_f64_e32 v[79:80], v[20:21], v[44:45]
	;; [unrolled: 1-line block ×5, first 2 shown]
	v_add_f64_e64 v[46:47], v[46:47], -v[26:27]
	v_add_f64_e32 v[71:72], v[28:29], v[40:41]
	v_add_f64_e64 v[44:45], v[44:45], -v[24:25]
	v_add_f64_e32 v[73:74], v[30:31], v[42:43]
	v_add_f64_e32 v[83:84], v[12:13], v[28:29]
	;; [unrolled: 1-line block ×3, first 2 shown]
	v_add_f64_e64 v[87:88], v[30:31], -v[42:43]
	v_add_f64_e64 v[89:90], v[28:29], -v[40:41]
	v_fma_f64 v[56:57], v[56:57], -0.5, v[16:17]
	v_fma_f64 v[65:66], v[65:66], -0.5, v[18:19]
	v_add_f64_e32 v[16:17], v[79:80], v[24:25]
	v_fma_f64 v[67:68], v[67:68], -0.5, v[20:21]
	v_add_f64_e32 v[18:19], v[81:82], v[26:27]
	v_fma_f64 v[69:70], v[69:70], -0.5, v[22:23]
	v_fma_f64 v[71:72], v[71:72], -0.5, v[12:13]
	v_add_f64_e32 v[12:13], v[75:76], v[36:37]
	v_fma_f64 v[73:74], v[73:74], -0.5, v[14:15]
	v_add_f64_e32 v[14:15], v[34:35], v[38:39]
	v_add_f64_e32 v[20:21], v[83:84], v[40:41]
	;; [unrolled: 1-line block ×3, first 2 shown]
	v_fma_f64 v[24:25], v[77:78], s[2:3], v[56:57]
	s_wait_alu 0xfffe
	v_fma_f64 v[28:29], v[77:78], s[6:7], v[56:57]
	v_fma_f64 v[26:27], v[32:33], s[6:7], v[65:66]
	;; [unrolled: 1-line block ×11, first 2 shown]
	ds_store_b128 v61, v[12:15]
	ds_store_b128 v61, v[24:27] offset:4800
	ds_store_b128 v61, v[28:31] offset:9600
	ds_store_b128 v64, v[16:19]
	ds_store_b128 v64, v[32:35] offset:4800
	ds_store_b128 v64, v[36:39] offset:9600
	;; [unrolled: 3-line block ×3, first 2 shown]
	s_and_saveexec_b32 s1, s0
	s_cbranch_execz .LBB0_21
; %bb.20:
	v_subrev_nc_u32_e32 v12, 30, v48
	s_delay_alu instid0(VALU_DEP_1) | instskip(NEXT) | instid1(VALU_DEP_1)
	v_cndmask_b32_e64 v12, v12, v52, s0
	v_lshlrev_b32_e32 v58, 1, v12
	s_delay_alu instid0(VALU_DEP_1) | instskip(NEXT) | instid1(VALU_DEP_1)
	v_lshlrev_b64_e32 v[12:13], 4, v[58:59]
	v_add_co_u32 v16, s0, s4, v12
	s_wait_alu 0xf1ff
	s_delay_alu instid0(VALU_DEP_2)
	v_add_co_ci_u32_e64 v17, s0, s5, v13, s0
	s_clause 0x1
	global_load_b128 v[12:15], v[16:17], off offset:4640
	global_load_b128 v[16:19], v[16:17], off offset:4656
	s_wait_loadcnt 0x1
	v_mul_f64_e32 v[20:21], v[4:5], v[14:15]
	s_wait_loadcnt 0x0
	v_mul_f64_e32 v[22:23], v[8:9], v[18:19]
	v_mul_f64_e32 v[14:15], v[6:7], v[14:15]
	;; [unrolled: 1-line block ×3, first 2 shown]
	s_delay_alu instid0(VALU_DEP_4) | instskip(NEXT) | instid1(VALU_DEP_4)
	v_fma_f64 v[6:7], v[6:7], v[12:13], -v[20:21]
	v_fma_f64 v[10:11], v[10:11], v[16:17], -v[22:23]
	s_delay_alu instid0(VALU_DEP_4) | instskip(NEXT) | instid1(VALU_DEP_4)
	v_fma_f64 v[4:5], v[4:5], v[12:13], v[14:15]
	v_fma_f64 v[8:9], v[8:9], v[16:17], v[18:19]
	s_delay_alu instid0(VALU_DEP_4) | instskip(NEXT) | instid1(VALU_DEP_4)
	v_add_f64_e32 v[18:19], v[2:3], v[6:7]
	v_add_f64_e32 v[12:13], v[6:7], v[10:11]
	v_add_f64_e64 v[20:21], v[6:7], -v[10:11]
	s_delay_alu instid0(VALU_DEP_4)
	v_add_f64_e32 v[14:15], v[4:5], v[8:9]
	v_add_f64_e64 v[16:17], v[4:5], -v[8:9]
	v_add_f64_e32 v[4:5], v[0:1], v[4:5]
	v_fma_f64 v[12:13], v[12:13], -0.5, v[2:3]
	v_add_f64_e32 v[2:3], v[18:19], v[10:11]
	v_fma_f64 v[14:15], v[14:15], -0.5, v[0:1]
	s_delay_alu instid0(VALU_DEP_4) | instskip(NEXT) | instid1(VALU_DEP_4)
	v_add_f64_e32 v[0:1], v[4:5], v[8:9]
	v_fma_f64 v[10:11], v[16:17], s[6:7], v[12:13]
	v_fma_f64 v[6:7], v[16:17], s[2:3], v[12:13]
	s_delay_alu instid0(VALU_DEP_4)
	v_fma_f64 v[8:9], v[20:21], s[2:3], v[14:15]
	v_fma_f64 v[4:5], v[20:21], s[6:7], v[14:15]
	ds_store_b128 v61, v[0:3] offset:4320
	ds_store_b128 v61, v[8:11] offset:9120
	ds_store_b128 v61, v[4:7] offset:13920
.LBB0_21:
	s_wait_alu 0xfffe
	s_or_b32 exec_lo, exec_lo, s1
	global_wb scope:SCOPE_SE
	s_wait_dscnt 0x0
	s_barrier_signal -1
	s_barrier_wait -1
	global_inv scope:SCOPE_SE
	ds_load_b128 v[4:7], v60
	v_sub_nc_u32_e32 v14, v49, v54
	s_mov_b32 s1, exec_lo
                                        ; implicit-def: $vgpr0_vgpr1
                                        ; implicit-def: $vgpr10_vgpr11
                                        ; implicit-def: $vgpr12_vgpr13
                                        ; implicit-def: $vgpr8_vgpr9
	v_cmpx_ne_u32_e32 0, v48
	s_wait_alu 0xfffe
	s_xor_b32 s1, exec_lo, s1
	s_cbranch_execz .LBB0_23
; %bb.22:
	v_mov_b32_e32 v49, 0
	s_delay_alu instid0(VALU_DEP_1) | instskip(NEXT) | instid1(VALU_DEP_1)
	v_lshlrev_b64_e32 v[0:1], 4, v[48:49]
	v_add_co_u32 v0, s0, s4, v0
	s_wait_alu 0xf1ff
	s_delay_alu instid0(VALU_DEP_2)
	v_add_co_ci_u32_e64 v1, s0, s5, v1, s0
	global_load_b128 v[8:11], v[0:1], off offset:14240
	ds_load_b128 v[0:3], v14 offset:14400
	s_wait_dscnt 0x0
	v_add_f64_e64 v[12:13], v[4:5], -v[0:1]
	v_add_f64_e32 v[15:16], v[6:7], v[2:3]
	v_add_f64_e64 v[2:3], v[6:7], -v[2:3]
	v_add_f64_e32 v[0:1], v[4:5], v[0:1]
	s_delay_alu instid0(VALU_DEP_4) | instskip(NEXT) | instid1(VALU_DEP_4)
	v_mul_f64_e32 v[6:7], 0.5, v[12:13]
	v_mul_f64_e32 v[4:5], 0.5, v[15:16]
	s_delay_alu instid0(VALU_DEP_4) | instskip(SKIP_1) | instid1(VALU_DEP_3)
	v_mul_f64_e32 v[2:3], 0.5, v[2:3]
	s_wait_loadcnt 0x0
	v_mul_f64_e32 v[12:13], v[6:7], v[10:11]
	s_delay_alu instid0(VALU_DEP_2) | instskip(SKIP_1) | instid1(VALU_DEP_3)
	v_fma_f64 v[15:16], v[4:5], v[10:11], v[2:3]
	v_fma_f64 v[2:3], v[4:5], v[10:11], -v[2:3]
	v_fma_f64 v[17:18], v[0:1], 0.5, v[12:13]
	v_fma_f64 v[0:1], v[0:1], 0.5, -v[12:13]
	s_delay_alu instid0(VALU_DEP_4) | instskip(NEXT) | instid1(VALU_DEP_4)
	v_fma_f64 v[12:13], -v[8:9], v[6:7], v[15:16]
	v_fma_f64 v[2:3], -v[8:9], v[6:7], v[2:3]
	s_delay_alu instid0(VALU_DEP_4) | instskip(NEXT) | instid1(VALU_DEP_4)
	v_fma_f64 v[10:11], v[4:5], v[8:9], v[17:18]
	v_fma_f64 v[0:1], -v[4:5], v[8:9], v[0:1]
	v_dual_mov_b32 v8, v48 :: v_dual_mov_b32 v9, v49
                                        ; implicit-def: $vgpr4_vgpr5
                                        ; implicit-def: $vgpr49
.LBB0_23:
	s_wait_alu 0xfffe
	s_and_not1_saveexec_b32 s0, s1
	s_cbranch_execz .LBB0_25
; %bb.24:
	s_wait_dscnt 0x0
	v_add_f64_e32 v[10:11], v[4:5], v[6:7]
	v_add_f64_e64 v[0:1], v[4:5], -v[6:7]
	ds_load_b64 v[4:5], v49 offset:7208
	v_mov_b32_e32 v12, 0
	v_dual_mov_b32 v13, 0 :: v_dual_mov_b32 v8, 0
	s_delay_alu instid0(VALU_DEP_2) | instskip(NEXT) | instid1(VALU_DEP_2)
	v_dual_mov_b32 v9, 0 :: v_dual_mov_b32 v2, v12
	v_mov_b32_e32 v3, v13
	s_wait_dscnt 0x0
	v_xor_b32_e32 v5, 0x80000000, v5
	ds_store_b64 v49, v[4:5] offset:7208
.LBB0_25:
	s_wait_alu 0xfffe
	s_or_b32 exec_lo, exec_lo, s0
	v_mov_b32_e32 v54, 0
	s_wait_dscnt 0x0
	s_delay_alu instid0(VALU_DEP_1) | instskip(SKIP_1) | instid1(VALU_DEP_1)
	v_lshlrev_b64_e32 v[4:5], 4, v[53:54]
	v_dual_mov_b32 v56, v54 :: v_dual_mov_b32 v53, v54
	v_lshlrev_b64_e32 v[15:16], 4, v[55:56]
	s_delay_alu instid0(VALU_DEP_3) | instskip(SKIP_1) | instid1(VALU_DEP_4)
	v_add_co_u32 v4, s0, s4, v4
	s_wait_alu 0xf1ff
	v_add_co_ci_u32_e64 v5, s0, s5, v5, s0
	s_delay_alu instid0(VALU_DEP_3)
	v_add_co_u32 v15, s0, s4, v15
	global_load_b128 v[4:7], v[4:5], off offset:14240
	s_wait_alu 0xf1ff
	v_add_co_ci_u32_e64 v16, s0, s5, v16, s0
	global_load_b128 v[15:18], v[15:16], off offset:14240
	ds_store_2addr_b64 v60, v[10:11], v[12:13] offset1:1
	ds_store_b128 v14, v[0:3] offset:14400
	ds_load_b128 v[0:3], v64
	ds_load_b128 v[10:13], v14 offset:12960
	s_wait_dscnt 0x0
	v_add_f64_e64 v[19:20], v[0:1], -v[10:11]
	v_add_f64_e32 v[21:22], v[2:3], v[12:13]
	v_add_f64_e64 v[2:3], v[2:3], -v[12:13]
	v_add_f64_e32 v[0:1], v[0:1], v[10:11]
	s_delay_alu instid0(VALU_DEP_4) | instskip(NEXT) | instid1(VALU_DEP_4)
	v_mul_f64_e32 v[12:13], 0.5, v[19:20]
	v_mul_f64_e32 v[19:20], 0.5, v[21:22]
	s_delay_alu instid0(VALU_DEP_4) | instskip(SKIP_1) | instid1(VALU_DEP_3)
	v_mul_f64_e32 v[2:3], 0.5, v[2:3]
	s_wait_loadcnt 0x1
	v_mul_f64_e32 v[10:11], v[12:13], v[6:7]
	s_delay_alu instid0(VALU_DEP_2) | instskip(SKIP_1) | instid1(VALU_DEP_3)
	v_fma_f64 v[21:22], v[19:20], v[6:7], v[2:3]
	v_fma_f64 v[2:3], v[19:20], v[6:7], -v[2:3]
	v_fma_f64 v[6:7], v[0:1], 0.5, v[10:11]
	v_fma_f64 v[0:1], v[0:1], 0.5, -v[10:11]
	s_delay_alu instid0(VALU_DEP_4) | instskip(NEXT) | instid1(VALU_DEP_4)
	v_fma_f64 v[10:11], -v[4:5], v[12:13], v[21:22]
	v_fma_f64 v[2:3], -v[4:5], v[12:13], v[2:3]
	s_delay_alu instid0(VALU_DEP_4) | instskip(NEXT) | instid1(VALU_DEP_4)
	v_fma_f64 v[12:13], v[19:20], v[4:5], v[6:7]
	v_fma_f64 v[0:1], -v[19:20], v[4:5], v[0:1]
	v_lshlrev_b64_e32 v[4:5], 4, v[52:53]
	s_delay_alu instid0(VALU_DEP_1) | instskip(SKIP_1) | instid1(VALU_DEP_2)
	v_add_co_u32 v4, s0, s4, v4
	s_wait_alu 0xf1ff
	v_add_co_ci_u32_e64 v5, s0, s5, v5, s0
	s_add_nc_u64 s[0:1], s[4:5], 0x37a0
	global_load_b128 v[4:7], v[4:5], off offset:14240
	ds_store_2addr_b64 v64, v[12:13], v[10:11] offset1:1
	ds_store_b128 v14, v[0:3] offset:12960
	ds_load_b128 v[0:3], v63
	ds_load_b128 v[10:13], v14 offset:11520
	s_wait_dscnt 0x0
	v_add_f64_e64 v[19:20], v[0:1], -v[10:11]
	v_add_f64_e32 v[21:22], v[2:3], v[12:13]
	v_add_f64_e64 v[2:3], v[2:3], -v[12:13]
	v_add_f64_e32 v[0:1], v[0:1], v[10:11]
	s_delay_alu instid0(VALU_DEP_4) | instskip(NEXT) | instid1(VALU_DEP_4)
	v_mul_f64_e32 v[12:13], 0.5, v[19:20]
	v_mul_f64_e32 v[19:20], 0.5, v[21:22]
	s_delay_alu instid0(VALU_DEP_4) | instskip(SKIP_1) | instid1(VALU_DEP_3)
	v_mul_f64_e32 v[2:3], 0.5, v[2:3]
	s_wait_loadcnt 0x1
	v_mul_f64_e32 v[10:11], v[12:13], v[17:18]
	s_delay_alu instid0(VALU_DEP_2) | instskip(SKIP_1) | instid1(VALU_DEP_3)
	v_fma_f64 v[21:22], v[19:20], v[17:18], v[2:3]
	v_fma_f64 v[2:3], v[19:20], v[17:18], -v[2:3]
	v_fma_f64 v[17:18], v[0:1], 0.5, v[10:11]
	v_fma_f64 v[0:1], v[0:1], 0.5, -v[10:11]
	s_delay_alu instid0(VALU_DEP_4) | instskip(NEXT) | instid1(VALU_DEP_4)
	v_fma_f64 v[21:22], -v[15:16], v[12:13], v[21:22]
	v_fma_f64 v[12:13], -v[15:16], v[12:13], v[2:3]
	s_delay_alu instid0(VALU_DEP_4) | instskip(NEXT) | instid1(VALU_DEP_4)
	v_fma_f64 v[2:3], v[19:20], v[15:16], v[17:18]
	v_fma_f64 v[10:11], -v[19:20], v[15:16], v[0:1]
	v_lshlrev_b64_e32 v[0:1], 4, v[8:9]
	s_wait_alu 0xfffe
	s_delay_alu instid0(VALU_DEP_1) | instskip(SKIP_1) | instid1(VALU_DEP_2)
	v_add_co_u32 v8, s0, s0, v0
	s_wait_alu 0xf1ff
	v_add_co_ci_u32_e64 v9, s0, s1, v1, s0
	global_load_b128 v[15:18], v[8:9], off offset:5760
	ds_store_2addr_b64 v63, v[2:3], v[21:22] offset1:1
	ds_store_b128 v14, v[10:13] offset:11520
	ds_load_b128 v[8:11], v62
	ds_load_b128 v[19:22], v14 offset:10080
	s_wait_dscnt 0x0
	v_add_f64_e64 v[2:3], v[8:9], -v[19:20]
	v_add_f64_e32 v[12:13], v[10:11], v[21:22]
	v_add_f64_e64 v[10:11], v[10:11], -v[21:22]
	v_add_f64_e32 v[8:9], v[8:9], v[19:20]
	s_delay_alu instid0(VALU_DEP_4) | instskip(NEXT) | instid1(VALU_DEP_4)
	v_mul_f64_e32 v[2:3], 0.5, v[2:3]
	v_mul_f64_e32 v[12:13], 0.5, v[12:13]
	s_delay_alu instid0(VALU_DEP_4) | instskip(SKIP_1) | instid1(VALU_DEP_3)
	v_mul_f64_e32 v[10:11], 0.5, v[10:11]
	s_wait_loadcnt 0x1
	v_mul_f64_e32 v[19:20], v[2:3], v[6:7]
	s_delay_alu instid0(VALU_DEP_2) | instskip(SKIP_1) | instid1(VALU_DEP_3)
	v_fma_f64 v[21:22], v[12:13], v[6:7], v[10:11]
	v_fma_f64 v[6:7], v[12:13], v[6:7], -v[10:11]
	v_fma_f64 v[10:11], v[8:9], 0.5, v[19:20]
	v_fma_f64 v[8:9], v[8:9], 0.5, -v[19:20]
	s_delay_alu instid0(VALU_DEP_4) | instskip(NEXT) | instid1(VALU_DEP_4)
	v_fma_f64 v[19:20], -v[4:5], v[2:3], v[21:22]
	v_fma_f64 v[6:7], -v[4:5], v[2:3], v[6:7]
	s_delay_alu instid0(VALU_DEP_4) | instskip(NEXT) | instid1(VALU_DEP_4)
	v_fma_f64 v[2:3], v[12:13], v[4:5], v[10:11]
	v_fma_f64 v[4:5], -v[12:13], v[4:5], v[8:9]
	ds_store_2addr_b64 v62, v[2:3], v[19:20] offset1:1
	ds_store_b128 v14, v[4:7] offset:10080
	ds_load_b128 v[2:5], v60 offset:5760
	ds_load_b128 v[6:9], v14 offset:8640
	s_wait_dscnt 0x0
	v_add_f64_e64 v[10:11], v[2:3], -v[6:7]
	v_add_f64_e32 v[12:13], v[4:5], v[8:9]
	v_add_f64_e64 v[4:5], v[4:5], -v[8:9]
	v_add_f64_e32 v[2:3], v[2:3], v[6:7]
	s_delay_alu instid0(VALU_DEP_4) | instskip(NEXT) | instid1(VALU_DEP_4)
	v_mul_f64_e32 v[8:9], 0.5, v[10:11]
	v_mul_f64_e32 v[10:11], 0.5, v[12:13]
	s_delay_alu instid0(VALU_DEP_4) | instskip(SKIP_1) | instid1(VALU_DEP_3)
	v_mul_f64_e32 v[4:5], 0.5, v[4:5]
	s_wait_loadcnt 0x0
	v_mul_f64_e32 v[6:7], v[8:9], v[17:18]
	s_delay_alu instid0(VALU_DEP_2) | instskip(SKIP_1) | instid1(VALU_DEP_3)
	v_fma_f64 v[12:13], v[10:11], v[17:18], v[4:5]
	v_fma_f64 v[4:5], v[10:11], v[17:18], -v[4:5]
	v_fma_f64 v[17:18], v[2:3], 0.5, v[6:7]
	v_fma_f64 v[2:3], v[2:3], 0.5, -v[6:7]
	s_delay_alu instid0(VALU_DEP_4) | instskip(NEXT) | instid1(VALU_DEP_4)
	v_fma_f64 v[6:7], -v[15:16], v[8:9], v[12:13]
	v_fma_f64 v[4:5], -v[15:16], v[8:9], v[4:5]
	s_delay_alu instid0(VALU_DEP_4) | instskip(NEXT) | instid1(VALU_DEP_4)
	v_fma_f64 v[8:9], v[10:11], v[15:16], v[17:18]
	v_fma_f64 v[2:3], -v[10:11], v[15:16], v[2:3]
	v_add_nc_u32_e32 v10, 0x1000, v60
	ds_store_2addr_b64 v10, v[8:9], v[6:7] offset0:208 offset1:209
	ds_store_b128 v14, v[2:5] offset:8640
	global_wb scope:SCOPE_SE
	s_wait_dscnt 0x0
	s_barrier_signal -1
	s_barrier_wait -1
	global_inv scope:SCOPE_SE
	s_and_saveexec_b32 s0, vcc_lo
	s_cbranch_execz .LBB0_28
; %bb.26:
	ds_load_b128 v[4:7], v60
	ds_load_b128 v[8:11], v60 offset:1440
	ds_load_b128 v[12:15], v60 offset:2880
	;; [unrolled: 1-line block ×9, first 2 shown]
	v_add_co_u32 v2, vcc_lo, s8, v50
	s_wait_alu 0xfffd
	v_add_co_ci_u32_e32 v3, vcc_lo, s9, v51, vcc_lo
	s_delay_alu instid0(VALU_DEP_2) | instskip(SKIP_1) | instid1(VALU_DEP_2)
	v_add_co_u32 v0, vcc_lo, v2, v0
	s_wait_alu 0xfffd
	v_add_co_ci_u32_e32 v1, vcc_lo, v3, v1, vcc_lo
	v_cmp_eq_u32_e32 vcc_lo, 0x59, v48
	s_wait_dscnt 0x9
	global_store_b128 v[0:1], v[4:7], off
	s_wait_dscnt 0x8
	global_store_b128 v[0:1], v[8:11], off offset:1440
	s_wait_dscnt 0x7
	global_store_b128 v[0:1], v[12:15], off offset:2880
	;; [unrolled: 2-line block ×9, first 2 shown]
	s_and_b32 exec_lo, exec_lo, vcc_lo
	s_cbranch_execz .LBB0_28
; %bb.27:
	ds_load_b128 v[4:7], v60 offset:12976
	s_wait_dscnt 0x0
	global_store_b128 v[2:3], v[4:7], off offset:14400
.LBB0_28:
	s_nop 0
	s_sendmsg sendmsg(MSG_DEALLOC_VGPRS)
	s_endpgm
	.section	.rodata,"a",@progbits
	.p2align	6, 0x0
	.amdhsa_kernel fft_rtc_back_len900_factors_10_10_3_3_wgs_180_tpt_90_halfLds_dp_ip_CI_unitstride_sbrr_R2C_dirReg
		.amdhsa_group_segment_fixed_size 0
		.amdhsa_private_segment_fixed_size 0
		.amdhsa_kernarg_size 88
		.amdhsa_user_sgpr_count 2
		.amdhsa_user_sgpr_dispatch_ptr 0
		.amdhsa_user_sgpr_queue_ptr 0
		.amdhsa_user_sgpr_kernarg_segment_ptr 1
		.amdhsa_user_sgpr_dispatch_id 0
		.amdhsa_user_sgpr_private_segment_size 0
		.amdhsa_wavefront_size32 1
		.amdhsa_uses_dynamic_stack 0
		.amdhsa_enable_private_segment 0
		.amdhsa_system_sgpr_workgroup_id_x 1
		.amdhsa_system_sgpr_workgroup_id_y 0
		.amdhsa_system_sgpr_workgroup_id_z 0
		.amdhsa_system_sgpr_workgroup_info 0
		.amdhsa_system_vgpr_workitem_id 0
		.amdhsa_next_free_vgpr 105
		.amdhsa_next_free_sgpr 32
		.amdhsa_reserve_vcc 1
		.amdhsa_float_round_mode_32 0
		.amdhsa_float_round_mode_16_64 0
		.amdhsa_float_denorm_mode_32 3
		.amdhsa_float_denorm_mode_16_64 3
		.amdhsa_fp16_overflow 0
		.amdhsa_workgroup_processor_mode 1
		.amdhsa_memory_ordered 1
		.amdhsa_forward_progress 0
		.amdhsa_round_robin_scheduling 0
		.amdhsa_exception_fp_ieee_invalid_op 0
		.amdhsa_exception_fp_denorm_src 0
		.amdhsa_exception_fp_ieee_div_zero 0
		.amdhsa_exception_fp_ieee_overflow 0
		.amdhsa_exception_fp_ieee_underflow 0
		.amdhsa_exception_fp_ieee_inexact 0
		.amdhsa_exception_int_div_zero 0
	.end_amdhsa_kernel
	.text
.Lfunc_end0:
	.size	fft_rtc_back_len900_factors_10_10_3_3_wgs_180_tpt_90_halfLds_dp_ip_CI_unitstride_sbrr_R2C_dirReg, .Lfunc_end0-fft_rtc_back_len900_factors_10_10_3_3_wgs_180_tpt_90_halfLds_dp_ip_CI_unitstride_sbrr_R2C_dirReg
                                        ; -- End function
	.section	.AMDGPU.csdata,"",@progbits
; Kernel info:
; codeLenInByte = 8828
; NumSgprs: 34
; NumVgprs: 105
; ScratchSize: 0
; MemoryBound: 0
; FloatMode: 240
; IeeeMode: 1
; LDSByteSize: 0 bytes/workgroup (compile time only)
; SGPRBlocks: 4
; VGPRBlocks: 13
; NumSGPRsForWavesPerEU: 34
; NumVGPRsForWavesPerEU: 105
; Occupancy: 12
; WaveLimiterHint : 1
; COMPUTE_PGM_RSRC2:SCRATCH_EN: 0
; COMPUTE_PGM_RSRC2:USER_SGPR: 2
; COMPUTE_PGM_RSRC2:TRAP_HANDLER: 0
; COMPUTE_PGM_RSRC2:TGID_X_EN: 1
; COMPUTE_PGM_RSRC2:TGID_Y_EN: 0
; COMPUTE_PGM_RSRC2:TGID_Z_EN: 0
; COMPUTE_PGM_RSRC2:TIDIG_COMP_CNT: 0
	.text
	.p2alignl 7, 3214868480
	.fill 96, 4, 3214868480
	.type	__hip_cuid_bb846403a9788ffa,@object ; @__hip_cuid_bb846403a9788ffa
	.section	.bss,"aw",@nobits
	.globl	__hip_cuid_bb846403a9788ffa
__hip_cuid_bb846403a9788ffa:
	.byte	0                               ; 0x0
	.size	__hip_cuid_bb846403a9788ffa, 1

	.ident	"AMD clang version 19.0.0git (https://github.com/RadeonOpenCompute/llvm-project roc-6.4.0 25133 c7fe45cf4b819c5991fe208aaa96edf142730f1d)"
	.section	".note.GNU-stack","",@progbits
	.addrsig
	.addrsig_sym __hip_cuid_bb846403a9788ffa
	.amdgpu_metadata
---
amdhsa.kernels:
  - .args:
      - .actual_access:  read_only
        .address_space:  global
        .offset:         0
        .size:           8
        .value_kind:     global_buffer
      - .offset:         8
        .size:           8
        .value_kind:     by_value
      - .actual_access:  read_only
        .address_space:  global
        .offset:         16
        .size:           8
        .value_kind:     global_buffer
      - .actual_access:  read_only
        .address_space:  global
        .offset:         24
        .size:           8
        .value_kind:     global_buffer
      - .offset:         32
        .size:           8
        .value_kind:     by_value
      - .actual_access:  read_only
        .address_space:  global
        .offset:         40
        .size:           8
        .value_kind:     global_buffer
      - .actual_access:  read_only
        .address_space:  global
        .offset:         48
        .size:           8
        .value_kind:     global_buffer
      - .offset:         56
        .size:           4
        .value_kind:     by_value
      - .actual_access:  read_only
        .address_space:  global
        .offset:         64
        .size:           8
        .value_kind:     global_buffer
      - .actual_access:  read_only
        .address_space:  global
        .offset:         72
        .size:           8
        .value_kind:     global_buffer
      - .address_space:  global
        .offset:         80
        .size:           8
        .value_kind:     global_buffer
    .group_segment_fixed_size: 0
    .kernarg_segment_align: 8
    .kernarg_segment_size: 88
    .language:       OpenCL C
    .language_version:
      - 2
      - 0
    .max_flat_workgroup_size: 180
    .name:           fft_rtc_back_len900_factors_10_10_3_3_wgs_180_tpt_90_halfLds_dp_ip_CI_unitstride_sbrr_R2C_dirReg
    .private_segment_fixed_size: 0
    .sgpr_count:     34
    .sgpr_spill_count: 0
    .symbol:         fft_rtc_back_len900_factors_10_10_3_3_wgs_180_tpt_90_halfLds_dp_ip_CI_unitstride_sbrr_R2C_dirReg.kd
    .uniform_work_group_size: 1
    .uses_dynamic_stack: false
    .vgpr_count:     105
    .vgpr_spill_count: 0
    .wavefront_size: 32
    .workgroup_processor_mode: 1
amdhsa.target:   amdgcn-amd-amdhsa--gfx1201
amdhsa.version:
  - 1
  - 2
...

	.end_amdgpu_metadata
